;; amdgpu-corpus repo=zjin-lcf/HeCBench kind=compiled arch=gfx950 opt=O3
	.amdgcn_target "amdgcn-amd-amdhsa--gfx950"
	.amdhsa_code_object_version 6
	.text
	.protected	_Z10SimulationPfS_PKfS1_Pmmjif ; -- Begin function _Z10SimulationPfS_PKfS1_Pmmjif
	.globl	_Z10SimulationPfS_PKfS1_Pmmjif
	.p2align	8
	.type	_Z10SimulationPfS_PKfS1_Pmmjif,@function
_Z10SimulationPfS_PKfS1_Pmmjif:         ; @_Z10SimulationPfS_PKfS1_Pmmjif
; %bb.0:
	s_load_dword s3, s[0:1], 0x4c
	s_load_dwordx2 s[14:15], s[0:1], 0x28
	v_mov_b32_e32 v9, 0
	s_waitcnt lgkmcnt(0)
	s_and_b32 s3, s3, 0xffff
	s_mul_i32 s2, s2, s3
	v_add_u32_e32 v8, s2, v0
	v_cmp_gt_u64_e32 vcc, s[14:15], v[8:9]
	s_and_saveexec_b64 s[2:3], vcc
	s_cbranch_execz .LBB0_8
; %bb.1:
	s_load_dwordx4 s[8:11], s[0:1], 0x0
	s_load_dwordx4 s[4:7], s[0:1], 0x30
	v_lshlrev_b64 v[6:7], 2, v[8:9]
	s_mov_b32 s13, 0
	s_waitcnt lgkmcnt(0)
	v_lshl_add_u64 v[0:1], s[8:9], 0, v[6:7]
	v_lshl_add_u64 v[2:3], s[10:11], 0, v[6:7]
	global_load_dword v5, v[0:1], off
	global_load_dword v4, v[2:3], off
	s_cmp_eq_u32 s4, 0
	s_cbranch_scc1 .LBB0_7
; %bb.2:
	s_load_dwordx4 s[8:11], s[0:1], 0x10
	s_load_dwordx2 s[2:3], s[0:1], 0x20
	s_mul_i32 s0, s5, s5
	v_mad_u64_u32 v[12:13], s[0:1], s0, v8, 0
	s_mov_b32 s12, s4
	s_mul_hi_i32 s4, s5, s5
	v_mov_b32_e32 v10, v13
	v_mad_u64_u32 v[8:9], s[0:1], s4, v8, v[10:11]
	v_cvt_f32_i32_e32 v10, s5
	v_mov_b32_e32 v13, v8
	v_mul_f32_e64 v11, s6, s6
	s_waitcnt lgkmcnt(0)
	v_lshl_add_u64 v[8:9], v[12:13], 3, s[2:3]
	s_lshl_b64 s[6:7], s[14:15], 2
	s_mov_b32 s16, 0x447a0000
	s_mov_b32 s4, 0xbd4ac083
	s_branch .LBB0_4
.LBB0_3:                                ;   in Loop: Header=BB0_4 Depth=1
	s_or_b64 exec, exec, s[14:15]
	s_add_u32 s12, s12, -1
	s_addc_u32 s13, s13, -1
	s_cmp_lg_u64 s[12:13], 0
	v_lshl_add_u64 v[6:7], v[6:7], 0, s[6:7]
	s_cbranch_scc0 .LBB0_7
.LBB0_4:                                ; =>This Inner Loop Header: Depth=1
	v_lshl_add_u64 v[12:13], s[8:9], 0, v[6:7]
	global_load_dword v14, v[12:13], off
	v_lshl_add_u64 v[12:13], s[10:11], 0, v[6:7]
	global_load_dword v12, v[12:13], off
	s_waitcnt vmcnt(1)
	v_div_scale_f32 v13, s[0:1], s16, s16, v14
	s_waitcnt vmcnt(0)
	v_div_scale_f32 v16, s[0:1], s16, s16, v12
	v_rcp_f32_e32 v17, v13
	v_rcp_f32_e32 v18, v16
	v_div_scale_f32 v15, vcc, v14, s16, v14
	v_fma_f32 v20, -v13, v17, 1.0
	v_fma_f32 v21, -v16, v18, 1.0
	v_fmac_f32_e32 v17, v20, v17
	v_div_scale_f32 v19, s[0:1], v12, s16, v12
	v_fmac_f32_e32 v18, v21, v18
	v_mul_f32_e32 v20, v15, v17
	v_mul_f32_e32 v21, v19, v18
	v_fma_f32 v22, -v13, v20, v15
	v_fma_f32 v23, -v16, v21, v19
	v_fmac_f32_e32 v20, v22, v17
	v_fmac_f32_e32 v21, v23, v18
	v_fma_f32 v13, -v13, v20, v15
	v_fma_f32 v15, -v16, v21, v19
	v_div_fmas_f32 v13, v13, v17, v20
	s_mov_b64 vcc, s[0:1]
	v_div_fixup_f32 v13, v13, s16, v14
	v_div_fmas_f32 v14, v15, v18, v21
	v_div_fixup_f32 v12, v14, s16, v12
	v_pk_add_f32 v[12:13], v[12:13], s[4:5] op_sel_hi:[1,0]
	s_nop 0
	v_pk_add_f32 v[4:5], v[4:5], v[12:13]
	s_nop 0
	v_cmp_lt_f32_e32 vcc, v5, v10
	s_and_saveexec_b64 s[14:15], vcc
	s_cbranch_execz .LBB0_3
; %bb.5:                                ;   in Loop: Header=BB0_4 Depth=1
	v_trunc_f32_e32 v12, v4
	v_trunc_f32_e32 v13, v5
	v_pk_add_f32 v[12:13], v[4:5], v[12:13] neg_lo:[0,1] neg_hi:[0,1]
	v_cmp_le_f32_e64 s[0:1], 0, v5
	v_cmp_le_f32_e64 s[2:3], 0, v4
	v_mul_f32_e32 v14, v13, v13
	v_cmp_lt_f32_e32 vcc, v4, v10
	s_and_b64 s[0:1], s[0:1], s[2:3]
	v_pk_fma_f32 v[12:13], v[12:13], v[12:13], v[14:15] op_sel_hi:[1,1,0]
	s_and_b64 s[0:1], s[0:1], vcc
	v_cmp_le_f32_e32 vcc, v12, v11
	s_and_b64 s[0:1], s[0:1], vcc
	s_and_b64 exec, exec, s[0:1]
	s_cbranch_execz .LBB0_3
; %bb.6:                                ;   in Loop: Header=BB0_4 Depth=1
	v_floor_f32_e32 v12, v4
	v_cvt_i32_f32_e32 v13, v12
	v_floor_f32_e32 v12, v5
	v_cvt_i32_f32_e32 v12, v12
	v_mul_lo_u32 v14, s5, v13
	v_ashrrev_i32_e32 v15, 31, v14
	v_ashrrev_i32_e32 v13, 31, v12
	v_lshl_add_u64 v[14:15], v[14:15], 3, v[8:9]
	v_lshl_add_u64 v[12:13], v[12:13], 3, v[14:15]
	global_load_dwordx2 v[14:15], v[12:13], off
	s_waitcnt vmcnt(0)
	v_lshl_add_u64 v[14:15], v[14:15], 0, 1
	global_store_dwordx2 v[12:13], v[14:15], off
	s_branch .LBB0_3
.LBB0_7:
	s_waitcnt vmcnt(1)
	global_store_dword v[0:1], v5, off
	s_waitcnt vmcnt(1)
	global_store_dword v[2:3], v4, off
.LBB0_8:
	s_endpgm
	.section	.rodata,"a",@progbits
	.p2align	6, 0x0
	.amdhsa_kernel _Z10SimulationPfS_PKfS1_Pmmjif
		.amdhsa_group_segment_fixed_size 0
		.amdhsa_private_segment_fixed_size 0
		.amdhsa_kernarg_size 320
		.amdhsa_user_sgpr_count 2
		.amdhsa_user_sgpr_dispatch_ptr 0
		.amdhsa_user_sgpr_queue_ptr 0
		.amdhsa_user_sgpr_kernarg_segment_ptr 1
		.amdhsa_user_sgpr_dispatch_id 0
		.amdhsa_user_sgpr_kernarg_preload_length 0
		.amdhsa_user_sgpr_kernarg_preload_offset 0
		.amdhsa_user_sgpr_private_segment_size 0
		.amdhsa_uses_dynamic_stack 0
		.amdhsa_enable_private_segment 0
		.amdhsa_system_sgpr_workgroup_id_x 1
		.amdhsa_system_sgpr_workgroup_id_y 0
		.amdhsa_system_sgpr_workgroup_id_z 0
		.amdhsa_system_sgpr_workgroup_info 0
		.amdhsa_system_vgpr_workitem_id 0
		.amdhsa_next_free_vgpr 24
		.amdhsa_next_free_sgpr 17
		.amdhsa_accum_offset 24
		.amdhsa_reserve_vcc 1
		.amdhsa_float_round_mode_32 0
		.amdhsa_float_round_mode_16_64 0
		.amdhsa_float_denorm_mode_32 3
		.amdhsa_float_denorm_mode_16_64 3
		.amdhsa_dx10_clamp 1
		.amdhsa_ieee_mode 1
		.amdhsa_fp16_overflow 0
		.amdhsa_tg_split 0
		.amdhsa_exception_fp_ieee_invalid_op 0
		.amdhsa_exception_fp_denorm_src 0
		.amdhsa_exception_fp_ieee_div_zero 0
		.amdhsa_exception_fp_ieee_overflow 0
		.amdhsa_exception_fp_ieee_underflow 0
		.amdhsa_exception_fp_ieee_inexact 0
		.amdhsa_exception_int_div_zero 0
	.end_amdhsa_kernel
	.text
.Lfunc_end0:
	.size	_Z10SimulationPfS_PKfS1_Pmmjif, .Lfunc_end0-_Z10SimulationPfS_PKfS1_Pmmjif
                                        ; -- End function
	.set _Z10SimulationPfS_PKfS1_Pmmjif.num_vgpr, 24
	.set _Z10SimulationPfS_PKfS1_Pmmjif.num_agpr, 0
	.set _Z10SimulationPfS_PKfS1_Pmmjif.numbered_sgpr, 17
	.set _Z10SimulationPfS_PKfS1_Pmmjif.num_named_barrier, 0
	.set _Z10SimulationPfS_PKfS1_Pmmjif.private_seg_size, 0
	.set _Z10SimulationPfS_PKfS1_Pmmjif.uses_vcc, 1
	.set _Z10SimulationPfS_PKfS1_Pmmjif.uses_flat_scratch, 0
	.set _Z10SimulationPfS_PKfS1_Pmmjif.has_dyn_sized_stack, 0
	.set _Z10SimulationPfS_PKfS1_Pmmjif.has_recursion, 0
	.set _Z10SimulationPfS_PKfS1_Pmmjif.has_indirect_call, 0
	.section	.AMDGPU.csdata,"",@progbits
; Kernel info:
; codeLenInByte = 656
; TotalNumSgprs: 23
; NumVgprs: 24
; NumAgprs: 0
; TotalNumVgprs: 24
; ScratchSize: 0
; MemoryBound: 0
; FloatMode: 240
; IeeeMode: 1
; LDSByteSize: 0 bytes/workgroup (compile time only)
; SGPRBlocks: 2
; VGPRBlocks: 2
; NumSGPRsForWavesPerEU: 23
; NumVGPRsForWavesPerEU: 24
; AccumOffset: 24
; Occupancy: 8
; WaveLimiterHint : 0
; COMPUTE_PGM_RSRC2:SCRATCH_EN: 0
; COMPUTE_PGM_RSRC2:USER_SGPR: 2
; COMPUTE_PGM_RSRC2:TRAP_HANDLER: 0
; COMPUTE_PGM_RSRC2:TGID_X_EN: 1
; COMPUTE_PGM_RSRC2:TGID_Y_EN: 0
; COMPUTE_PGM_RSRC2:TGID_Z_EN: 0
; COMPUTE_PGM_RSRC2:TIDIG_COMP_CNT: 0
; COMPUTE_PGM_RSRC3_GFX90A:ACCUM_OFFSET: 5
; COMPUTE_PGM_RSRC3_GFX90A:TG_SPLIT: 0
	.text
	.p2alignl 6, 3212836864
	.fill 256, 4, 3212836864
	.section	.AMDGPU.gpr_maximums,"",@progbits
	.set amdgpu.max_num_vgpr, 0
	.set amdgpu.max_num_agpr, 0
	.set amdgpu.max_num_sgpr, 0
	.text
	.type	__hip_cuid_84ddebbbdadf621f,@object ; @__hip_cuid_84ddebbbdadf621f
	.section	.bss,"aw",@nobits
	.globl	__hip_cuid_84ddebbbdadf621f
__hip_cuid_84ddebbbdadf621f:
	.byte	0                               ; 0x0
	.size	__hip_cuid_84ddebbbdadf621f, 1

	.ident	"AMD clang version 22.0.0git (https://github.com/RadeonOpenCompute/llvm-project roc-7.2.4 26084 f58b06dce1f9c15707c5f808fd002e18c2accf7e)"
	.section	".note.GNU-stack","",@progbits
	.addrsig
	.addrsig_sym __hip_cuid_84ddebbbdadf621f
	.amdgpu_metadata
---
amdhsa.kernels:
  - .agpr_count:     0
    .args:
      - .address_space:  global
        .offset:         0
        .size:           8
        .value_kind:     global_buffer
      - .address_space:  global
        .offset:         8
        .size:           8
        .value_kind:     global_buffer
      - .actual_access:  read_only
        .address_space:  global
        .offset:         16
        .size:           8
        .value_kind:     global_buffer
      - .actual_access:  read_only
        .address_space:  global
        .offset:         24
        .size:           8
        .value_kind:     global_buffer
      - .address_space:  global
        .offset:         32
        .size:           8
        .value_kind:     global_buffer
      - .offset:         40
        .size:           8
        .value_kind:     by_value
      - .offset:         48
        .size:           4
        .value_kind:     by_value
      - .offset:         52
        .size:           4
        .value_kind:     by_value
      - .offset:         56
        .size:           4
        .value_kind:     by_value
      - .offset:         64
        .size:           4
        .value_kind:     hidden_block_count_x
      - .offset:         68
        .size:           4
        .value_kind:     hidden_block_count_y
      - .offset:         72
        .size:           4
        .value_kind:     hidden_block_count_z
      - .offset:         76
        .size:           2
        .value_kind:     hidden_group_size_x
      - .offset:         78
        .size:           2
        .value_kind:     hidden_group_size_y
      - .offset:         80
        .size:           2
        .value_kind:     hidden_group_size_z
      - .offset:         82
        .size:           2
        .value_kind:     hidden_remainder_x
      - .offset:         84
        .size:           2
        .value_kind:     hidden_remainder_y
      - .offset:         86
        .size:           2
        .value_kind:     hidden_remainder_z
      - .offset:         104
        .size:           8
        .value_kind:     hidden_global_offset_x
      - .offset:         112
        .size:           8
        .value_kind:     hidden_global_offset_y
      - .offset:         120
        .size:           8
        .value_kind:     hidden_global_offset_z
      - .offset:         128
        .size:           2
        .value_kind:     hidden_grid_dims
    .group_segment_fixed_size: 0
    .kernarg_segment_align: 8
    .kernarg_segment_size: 320
    .language:       OpenCL C
    .language_version:
      - 2
      - 0
    .max_flat_workgroup_size: 1024
    .name:           _Z10SimulationPfS_PKfS1_Pmmjif
    .private_segment_fixed_size: 0
    .sgpr_count:     23
    .sgpr_spill_count: 0
    .symbol:         _Z10SimulationPfS_PKfS1_Pmmjif.kd
    .uniform_work_group_size: 1
    .uses_dynamic_stack: false
    .vgpr_count:     24
    .vgpr_spill_count: 0
    .wavefront_size: 64
amdhsa.target:   amdgcn-amd-amdhsa--gfx950
amdhsa.version:
  - 1
  - 2
...

	.end_amdgpu_metadata
